;; amdgpu-corpus repo=ROCm/rocFFT kind=compiled arch=gfx906 opt=O3
	.text
	.amdgcn_target "amdgcn-amd-amdhsa--gfx906"
	.amdhsa_code_object_version 6
	.protected	fft_rtc_fwd_len768_factors_16_3_16_wgs_48_tpt_48_halfLds_dp_ip_CI_unitstride_sbrr_dirReg ; -- Begin function fft_rtc_fwd_len768_factors_16_3_16_wgs_48_tpt_48_halfLds_dp_ip_CI_unitstride_sbrr_dirReg
	.globl	fft_rtc_fwd_len768_factors_16_3_16_wgs_48_tpt_48_halfLds_dp_ip_CI_unitstride_sbrr_dirReg
	.p2align	8
	.type	fft_rtc_fwd_len768_factors_16_3_16_wgs_48_tpt_48_halfLds_dp_ip_CI_unitstride_sbrr_dirReg,@function
fft_rtc_fwd_len768_factors_16_3_16_wgs_48_tpt_48_halfLds_dp_ip_CI_unitstride_sbrr_dirReg: ; @fft_rtc_fwd_len768_factors_16_3_16_wgs_48_tpt_48_halfLds_dp_ip_CI_unitstride_sbrr_dirReg
; %bb.0:
	s_load_dwordx2 s[2:3], s[4:5], 0x50
	s_load_dwordx4 s[8:11], s[4:5], 0x0
	s_load_dwordx2 s[12:13], s[4:5], 0x18
	v_mul_u32_u24_e32 v1, 0x556, v0
	v_add_u32_sdwa v5, s6, v1 dst_sel:DWORD dst_unused:UNUSED_PAD src0_sel:DWORD src1_sel:WORD_1
	v_mov_b32_e32 v3, 0
	s_waitcnt lgkmcnt(0)
	v_cmp_lt_u64_e64 s[0:1], s[10:11], 2
	v_mov_b32_e32 v1, 0
	v_mov_b32_e32 v6, v3
	s_and_b64 vcc, exec, s[0:1]
	v_mov_b32_e32 v2, 0
	s_cbranch_vccnz .LBB0_8
; %bb.1:
	s_load_dwordx2 s[0:1], s[4:5], 0x10
	s_add_u32 s6, s12, 8
	s_addc_u32 s7, s13, 0
	v_mov_b32_e32 v1, 0
	v_mov_b32_e32 v2, 0
	s_waitcnt lgkmcnt(0)
	s_add_u32 s14, s0, 8
	s_addc_u32 s15, s1, 0
	s_mov_b64 s[16:17], 1
.LBB0_2:                                ; =>This Inner Loop Header: Depth=1
	s_load_dwordx2 s[18:19], s[14:15], 0x0
                                        ; implicit-def: $vgpr7_vgpr8
	s_waitcnt lgkmcnt(0)
	v_or_b32_e32 v4, s19, v6
	v_cmp_ne_u64_e32 vcc, 0, v[3:4]
	s_and_saveexec_b64 s[0:1], vcc
	s_xor_b64 s[20:21], exec, s[0:1]
	s_cbranch_execz .LBB0_4
; %bb.3:                                ;   in Loop: Header=BB0_2 Depth=1
	v_cvt_f32_u32_e32 v4, s18
	v_cvt_f32_u32_e32 v7, s19
	s_sub_u32 s0, 0, s18
	s_subb_u32 s1, 0, s19
	v_mac_f32_e32 v4, 0x4f800000, v7
	v_rcp_f32_e32 v4, v4
	v_mul_f32_e32 v4, 0x5f7ffffc, v4
	v_mul_f32_e32 v7, 0x2f800000, v4
	v_trunc_f32_e32 v7, v7
	v_mac_f32_e32 v4, 0xcf800000, v7
	v_cvt_u32_f32_e32 v7, v7
	v_cvt_u32_f32_e32 v4, v4
	v_mul_lo_u32 v8, s0, v7
	v_mul_hi_u32 v9, s0, v4
	v_mul_lo_u32 v11, s1, v4
	v_mul_lo_u32 v10, s0, v4
	v_add_u32_e32 v8, v9, v8
	v_add_u32_e32 v8, v8, v11
	v_mul_hi_u32 v9, v4, v10
	v_mul_lo_u32 v11, v4, v8
	v_mul_hi_u32 v13, v4, v8
	v_mul_hi_u32 v12, v7, v10
	v_mul_lo_u32 v10, v7, v10
	v_mul_hi_u32 v14, v7, v8
	v_add_co_u32_e32 v9, vcc, v9, v11
	v_addc_co_u32_e32 v11, vcc, 0, v13, vcc
	v_mul_lo_u32 v8, v7, v8
	v_add_co_u32_e32 v9, vcc, v9, v10
	v_addc_co_u32_e32 v9, vcc, v11, v12, vcc
	v_addc_co_u32_e32 v10, vcc, 0, v14, vcc
	v_add_co_u32_e32 v8, vcc, v9, v8
	v_addc_co_u32_e32 v9, vcc, 0, v10, vcc
	v_add_co_u32_e32 v4, vcc, v4, v8
	v_addc_co_u32_e32 v7, vcc, v7, v9, vcc
	v_mul_lo_u32 v8, s0, v7
	v_mul_hi_u32 v9, s0, v4
	v_mul_lo_u32 v10, s1, v4
	v_mul_lo_u32 v11, s0, v4
	v_add_u32_e32 v8, v9, v8
	v_add_u32_e32 v8, v8, v10
	v_mul_lo_u32 v12, v4, v8
	v_mul_hi_u32 v13, v4, v11
	v_mul_hi_u32 v14, v4, v8
	;; [unrolled: 1-line block ×3, first 2 shown]
	v_mul_lo_u32 v11, v7, v11
	v_mul_hi_u32 v9, v7, v8
	v_add_co_u32_e32 v12, vcc, v13, v12
	v_addc_co_u32_e32 v13, vcc, 0, v14, vcc
	v_mul_lo_u32 v8, v7, v8
	v_add_co_u32_e32 v11, vcc, v12, v11
	v_addc_co_u32_e32 v10, vcc, v13, v10, vcc
	v_addc_co_u32_e32 v9, vcc, 0, v9, vcc
	v_add_co_u32_e32 v8, vcc, v10, v8
	v_addc_co_u32_e32 v9, vcc, 0, v9, vcc
	v_add_co_u32_e32 v4, vcc, v4, v8
	v_addc_co_u32_e32 v9, vcc, v7, v9, vcc
	v_mad_u64_u32 v[7:8], s[0:1], v5, v9, 0
	v_mul_hi_u32 v10, v5, v4
	v_add_co_u32_e32 v11, vcc, v10, v7
	v_addc_co_u32_e32 v12, vcc, 0, v8, vcc
	v_mad_u64_u32 v[7:8], s[0:1], v6, v4, 0
	v_mad_u64_u32 v[9:10], s[0:1], v6, v9, 0
	v_add_co_u32_e32 v4, vcc, v11, v7
	v_addc_co_u32_e32 v4, vcc, v12, v8, vcc
	v_addc_co_u32_e32 v7, vcc, 0, v10, vcc
	v_add_co_u32_e32 v4, vcc, v4, v9
	v_addc_co_u32_e32 v9, vcc, 0, v7, vcc
	v_mul_lo_u32 v10, s19, v4
	v_mul_lo_u32 v11, s18, v9
	v_mad_u64_u32 v[7:8], s[0:1], s18, v4, 0
	v_add3_u32 v8, v8, v11, v10
	v_sub_u32_e32 v10, v6, v8
	v_mov_b32_e32 v11, s19
	v_sub_co_u32_e32 v7, vcc, v5, v7
	v_subb_co_u32_e64 v10, s[0:1], v10, v11, vcc
	v_subrev_co_u32_e64 v11, s[0:1], s18, v7
	v_subbrev_co_u32_e64 v10, s[0:1], 0, v10, s[0:1]
	v_cmp_le_u32_e64 s[0:1], s19, v10
	v_cndmask_b32_e64 v12, 0, -1, s[0:1]
	v_cmp_le_u32_e64 s[0:1], s18, v11
	v_cndmask_b32_e64 v11, 0, -1, s[0:1]
	v_cmp_eq_u32_e64 s[0:1], s19, v10
	v_cndmask_b32_e64 v10, v12, v11, s[0:1]
	v_add_co_u32_e64 v11, s[0:1], 2, v4
	v_addc_co_u32_e64 v12, s[0:1], 0, v9, s[0:1]
	v_add_co_u32_e64 v13, s[0:1], 1, v4
	v_addc_co_u32_e64 v14, s[0:1], 0, v9, s[0:1]
	v_subb_co_u32_e32 v8, vcc, v6, v8, vcc
	v_cmp_ne_u32_e64 s[0:1], 0, v10
	v_cmp_le_u32_e32 vcc, s19, v8
	v_cndmask_b32_e64 v10, v14, v12, s[0:1]
	v_cndmask_b32_e64 v12, 0, -1, vcc
	v_cmp_le_u32_e32 vcc, s18, v7
	v_cndmask_b32_e64 v7, 0, -1, vcc
	v_cmp_eq_u32_e32 vcc, s19, v8
	v_cndmask_b32_e32 v7, v12, v7, vcc
	v_cmp_ne_u32_e32 vcc, 0, v7
	v_cndmask_b32_e64 v7, v13, v11, s[0:1]
	v_cndmask_b32_e32 v8, v9, v10, vcc
	v_cndmask_b32_e32 v7, v4, v7, vcc
.LBB0_4:                                ;   in Loop: Header=BB0_2 Depth=1
	s_andn2_saveexec_b64 s[0:1], s[20:21]
	s_cbranch_execz .LBB0_6
; %bb.5:                                ;   in Loop: Header=BB0_2 Depth=1
	v_cvt_f32_u32_e32 v4, s18
	s_sub_i32 s20, 0, s18
	v_rcp_iflag_f32_e32 v4, v4
	v_mul_f32_e32 v4, 0x4f7ffffe, v4
	v_cvt_u32_f32_e32 v4, v4
	v_mul_lo_u32 v7, s20, v4
	v_mul_hi_u32 v7, v4, v7
	v_add_u32_e32 v4, v4, v7
	v_mul_hi_u32 v4, v5, v4
	v_mul_lo_u32 v7, v4, s18
	v_add_u32_e32 v8, 1, v4
	v_sub_u32_e32 v7, v5, v7
	v_subrev_u32_e32 v9, s18, v7
	v_cmp_le_u32_e32 vcc, s18, v7
	v_cndmask_b32_e32 v7, v7, v9, vcc
	v_cndmask_b32_e32 v4, v4, v8, vcc
	v_add_u32_e32 v8, 1, v4
	v_cmp_le_u32_e32 vcc, s18, v7
	v_cndmask_b32_e32 v7, v4, v8, vcc
	v_mov_b32_e32 v8, v3
.LBB0_6:                                ;   in Loop: Header=BB0_2 Depth=1
	s_or_b64 exec, exec, s[0:1]
	v_mul_lo_u32 v4, v8, s18
	v_mul_lo_u32 v11, v7, s19
	v_mad_u64_u32 v[9:10], s[0:1], v7, s18, 0
	s_load_dwordx2 s[0:1], s[6:7], 0x0
	s_add_u32 s16, s16, 1
	v_add3_u32 v4, v10, v11, v4
	v_sub_co_u32_e32 v5, vcc, v5, v9
	v_subb_co_u32_e32 v4, vcc, v6, v4, vcc
	s_waitcnt lgkmcnt(0)
	v_mul_lo_u32 v4, s0, v4
	v_mul_lo_u32 v6, s1, v5
	v_mad_u64_u32 v[1:2], s[0:1], s0, v5, v[1:2]
	s_addc_u32 s17, s17, 0
	s_add_u32 s6, s6, 8
	v_add3_u32 v2, v6, v2, v4
	v_mov_b32_e32 v4, s10
	v_mov_b32_e32 v5, s11
	s_addc_u32 s7, s7, 0
	v_cmp_ge_u64_e32 vcc, s[16:17], v[4:5]
	s_add_u32 s14, s14, 8
	s_addc_u32 s15, s15, 0
	s_cbranch_vccnz .LBB0_9
; %bb.7:                                ;   in Loop: Header=BB0_2 Depth=1
	v_mov_b32_e32 v5, v7
	v_mov_b32_e32 v6, v8
	s_branch .LBB0_2
.LBB0_8:
	v_mov_b32_e32 v8, v6
	v_mov_b32_e32 v7, v5
.LBB0_9:
	s_lshl_b64 s[0:1], s[10:11], 3
	s_add_u32 s0, s12, s0
	s_addc_u32 s1, s13, s1
	s_load_dwordx2 s[6:7], s[0:1], 0x0
	s_load_dwordx2 s[10:11], s[4:5], 0x20
                                        ; implicit-def: $vgpr99
	s_waitcnt lgkmcnt(0)
	v_mad_u64_u32 v[1:2], s[0:1], s6, v7, v[1:2]
	s_mov_b32 s0, 0x5555556
	v_mul_lo_u32 v3, s6, v8
	v_mul_lo_u32 v4, s7, v7
	v_mul_hi_u32 v5, v0, s0
	v_cmp_gt_u64_e32 vcc, s[10:11], v[7:8]
	v_cmp_le_u64_e64 s[0:1], s[10:11], v[7:8]
	v_add3_u32 v2, v4, v2, v3
	v_mul_u32_u24_e32 v3, 48, v5
	v_sub_u32_e32 v75, v0, v3
                                        ; implicit-def: $sgpr6
	s_and_saveexec_b64 s[4:5], s[0:1]
	s_xor_b64 s[0:1], exec, s[4:5]
; %bb.10:
	v_or_b32_e32 v99, 0xc0, v75
	s_mov_b32 s6, 0
; %bb.11:
	s_or_saveexec_b64 s[4:5], s[0:1]
	v_lshlrev_b64 v[72:73], 4, v[1:2]
	v_mov_b32_e32 v74, s6
                                        ; implicit-def: $vgpr20_vgpr21
                                        ; implicit-def: $vgpr28_vgpr29
                                        ; implicit-def: $vgpr16_vgpr17
                                        ; implicit-def: $vgpr8_vgpr9
                                        ; implicit-def: $vgpr32_vgpr33
                                        ; implicit-def: $vgpr24_vgpr25
                                        ; implicit-def: $vgpr12_vgpr13
                                        ; implicit-def: $vgpr52_vgpr53
                                        ; implicit-def: $vgpr40_vgpr41
                                        ; implicit-def: $vgpr60_vgpr61
                                        ; implicit-def: $vgpr44_vgpr45
                                        ; implicit-def: $vgpr64_vgpr65
                                        ; implicit-def: $vgpr56_vgpr57
                                        ; implicit-def: $vgpr48_vgpr49
                                        ; implicit-def: $vgpr36_vgpr37
                                        ; implicit-def: $vgpr4_vgpr5
	s_xor_b64 exec, exec, s[4:5]
	s_cbranch_execz .LBB0_13
; %bb.12:
	v_mov_b32_e32 v76, 0
	v_mov_b32_e32 v0, s3
	v_add_co_u32_e64 v8, s[0:1], s2, v72
	v_addc_co_u32_e64 v9, s[0:1], v0, v73, s[0:1]
	v_lshlrev_b64 v[0:1], 4, v[75:76]
	v_or_b32_e32 v6, 0x180, v75
	v_add_co_u32_e64 v0, s[0:1], v8, v0
	v_addc_co_u32_e64 v1, s[0:1], v9, v1, s[0:1]
	s_movk_i32 s0, 0x1000
	v_mov_b32_e32 v7, v76
	v_add_co_u32_e64 v66, s[0:1], s0, v0
	v_lshlrev_b64 v[6:7], 4, v[6:7]
	v_addc_co_u32_e64 v67, s[0:1], 0, v1, s[0:1]
	v_add_co_u32_e64 v68, s[0:1], v8, v6
	v_addc_co_u32_e64 v69, s[0:1], v9, v7, s[0:1]
	s_movk_i32 s0, 0x2000
	v_or_b32_e32 v6, 0x240, v75
	v_mov_b32_e32 v7, v76
	v_add_co_u32_e64 v70, s[0:1], s0, v0
	v_lshlrev_b64 v[6:7], 4, v[6:7]
	v_addc_co_u32_e64 v71, s[0:1], 0, v1, s[0:1]
	v_add_co_u32_e64 v76, s[0:1], v8, v6
	global_load_dwordx4 v[2:5], v[0:1], off
	global_load_dwordx4 v[18:21], v[0:1], off offset:768
	global_load_dwordx4 v[26:29], v[0:1], off offset:1536
	global_load_dwordx4 v[14:17], v[0:1], off offset:2304
	v_addc_co_u32_e64 v77, s[0:1], v9, v7, s[0:1]
	global_load_dwordx4 v[6:9], v[0:1], off offset:3072
	global_load_dwordx4 v[30:33], v[0:1], off offset:3840
	;; [unrolled: 1-line block ×6, first 2 shown]
	global_load_dwordx4 v[10:13], v[68:69], off
	global_load_dwordx4 v[38:41], v[70:71], off offset:256
	global_load_dwordx4 v[42:45], v[70:71], off offset:1792
	global_load_dwordx4 v[62:65], v[70:71], off offset:2560
	global_load_dwordx4 v[58:61], v[76:77], off
	global_load_dwordx4 v[54:57], v[70:71], off offset:3328
	v_or_b32_e32 v99, 0xc0, v75
	v_mov_b32_e32 v74, v75
.LBB0_13:
	s_or_b64 exec, exec, s[4:5]
	s_waitcnt vmcnt(6)
	v_add_f64 v[0:1], v[26:27], -v[50:51]
	s_waitcnt vmcnt(1)
	v_add_f64 v[50:51], v[6:7], -v[58:59]
	v_add_f64 v[58:59], v[34:35], -v[62:63]
	;; [unrolled: 1-line block ×11, first 2 shown]
	s_waitcnt vmcnt(0)
	v_add_f64 v[64:65], v[24:25], -v[56:57]
	v_add_f64 v[54:55], v[22:23], -v[54:55]
	;; [unrolled: 1-line block ×3, first 2 shown]
	v_fma_f64 v[26:27], v[26:27], 2.0, -v[0:1]
	v_add_f64 v[84:85], v[0:1], -v[62:63]
	v_fma_f64 v[34:35], v[34:35], 2.0, -v[58:59]
	v_fma_f64 v[2:3], v[2:3], 2.0, -v[10:11]
	;; [unrolled: 1-line block ×4, first 2 shown]
	v_add_f64 v[28:29], v[46:47], -v[44:45]
	v_add_f64 v[68:69], v[38:39], -v[64:65]
	v_add_f64 v[70:71], v[40:41], v[54:55]
	v_add_f64 v[76:77], v[42:43], v[60:61]
	v_add_f64 v[80:81], v[10:11], -v[52:53]
	v_fma_f64 v[90:91], v[0:1], 2.0, -v[84:85]
	v_add_f64 v[0:1], v[2:3], -v[6:7]
	v_add_f64 v[56:57], v[26:27], -v[34:35]
	v_fma_f64 v[18:19], v[18:19], 2.0, -v[46:47]
	v_fma_f64 v[20:21], v[20:21], 2.0, -v[60:61]
	;; [unrolled: 1-line block ×9, first 2 shown]
	v_add_f64 v[86:87], v[66:67], v[58:59]
	v_fma_f64 v[58:59], v[10:11], 2.0, -v[80:81]
	v_fma_f64 v[2:3], v[2:3], 2.0, -v[0:1]
	;; [unrolled: 1-line block ×3, first 2 shown]
	s_mov_b32 s0, 0x667f3bcd
	s_mov_b32 s1, 0x3fe6a09e
	s_mov_b32 s15, 0xbfe6a09e
	s_mov_b32 s14, s0
	v_add_f64 v[30:31], v[18:19], -v[30:31]
	v_add_f64 v[22:23], v[14:15], -v[22:23]
	v_fma_f64 v[92:93], v[66:67], 2.0, -v[86:87]
	v_fma_f64 v[6:7], v[90:91], s[14:15], v[58:59]
	v_fma_f64 v[10:11], v[38:39], s[14:15], v[42:43]
	;; [unrolled: 1-line block ×3, first 2 shown]
	v_fma_f64 v[36:37], v[36:37], 2.0, -v[62:63]
	v_fma_f64 v[16:17], v[16:17], 2.0, -v[40:41]
	v_add_f64 v[40:41], v[2:3], -v[26:27]
	v_fma_f64 v[24:25], v[24:25], 2.0, -v[64:65]
	v_fma_f64 v[32:33], v[32:33], 2.0, -v[44:45]
	;; [unrolled: 1-line block ×4, first 2 shown]
	v_fma_f64 v[44:45], v[92:93], s[14:15], v[6:7]
	v_fma_f64 v[10:11], v[46:47], s[14:15], v[10:11]
	;; [unrolled: 1-line block ×3, first 2 shown]
	v_add_f64 v[78:79], v[48:49], -v[36:37]
	v_fma_f64 v[26:27], v[84:85], s[0:1], v[80:81]
	v_fma_f64 v[36:37], v[2:3], 2.0, -v[40:41]
	v_add_f64 v[2:3], v[16:17], -v[24:25]
	v_fma_f64 v[24:25], v[68:69], s[0:1], v[28:29]
	v_add_f64 v[54:55], v[18:19], -v[14:15]
	v_fma_f64 v[34:35], v[58:59], 2.0, -v[44:45]
	v_fma_f64 v[14:15], v[42:43], 2.0, -v[10:11]
	;; [unrolled: 1-line block ×3, first 2 shown]
	v_fma_f64 v[38:39], v[70:71], s[0:1], v[76:77]
	v_add_f64 v[42:43], v[0:1], -v[78:79]
	v_fma_f64 v[46:47], v[86:87], s[14:15], v[26:27]
	v_add_f64 v[26:27], v[20:21], -v[32:33]
	v_add_f64 v[102:103], v[30:31], -v[2:3]
	v_fma_f64 v[60:61], v[70:71], s[14:15], v[24:25]
	s_mov_b32 s4, 0xcf328d46
	s_mov_b32 s5, 0xbfed906b
	v_fma_f64 v[64:65], v[68:69], s[0:1], v[38:39]
	v_fma_f64 v[32:33], v[0:1], 2.0, -v[42:43]
	v_fma_f64 v[38:39], v[80:81], 2.0, -v[46:47]
	v_add_f64 v[80:81], v[22:23], v[26:27]
	v_fma_f64 v[68:69], v[30:31], 2.0, -v[102:103]
	v_fma_f64 v[62:63], v[28:29], 2.0, -v[60:61]
	;; [unrolled: 1-line block ×4, first 2 shown]
	s_mov_b32 s10, 0xa6aea964
	v_fma_f64 v[18:19], v[18:19], 2.0, -v[54:55]
	s_mov_b32 s11, 0xbfd87de2
	v_fma_f64 v[2:3], v[14:15], s[4:5], v[34:35]
	v_fma_f64 v[66:67], v[76:77], 2.0, -v[64:65]
	v_fma_f64 v[70:71], v[26:27], 2.0, -v[80:81]
	v_fma_f64 v[20:21], v[68:69], s[14:15], v[32:33]
	v_fma_f64 v[22:23], v[62:63], s[10:11], v[38:39]
	s_mov_b32 s7, 0x3fd87de2
	s_mov_b32 s6, s10
	v_add_f64 v[88:89], v[82:83], -v[0:1]
	v_fma_f64 v[0:1], v[10:11], s[6:7], v[44:45]
	s_mov_b32 s13, 0x3fed906b
	s_mov_b32 s12, s4
	v_fma_f64 v[28:29], v[102:103], s[0:1], v[42:43]
	v_fma_f64 v[30:31], v[60:61], s[12:13], v[46:47]
	v_add_f64 v[16:17], v[36:37], -v[18:19]
	v_fma_f64 v[18:19], v[58:59], s[10:11], v[2:3]
	v_fma_f64 v[20:21], v[70:71], s[14:15], v[20:21]
	;; [unrolled: 1-line block ×3, first 2 shown]
	v_add_f64 v[24:25], v[40:41], -v[88:89]
	v_fma_f64 v[26:27], v[6:7], s[4:5], v[0:1]
	v_fma_f64 v[0:1], v[80:81], s[14:15], v[28:29]
	;; [unrolled: 1-line block ×3, first 2 shown]
	v_fma_f64 v[28:29], v[36:37], 2.0, -v[16:17]
	v_fma_f64 v[30:31], v[34:35], 2.0, -v[18:19]
	;; [unrolled: 1-line block ×8, first 2 shown]
	v_lshl_add_u32 v101, v75, 7, 0
	v_mul_f64 v[90:91], v[90:91], s[0:1]
	v_mul_f64 v[94:95], v[92:93], s[0:1]
	;; [unrolled: 1-line block ×8, first 2 shown]
	s_movk_i32 s0, 0xff88
	ds_write_b128 v101, v[28:31]
	ds_write_b128 v101, v[32:35] offset:16
	ds_write_b128 v101, v[36:39] offset:32
	;; [unrolled: 1-line block ×7, first 2 shown]
	v_mad_i32_i24 v0, v75, s0, v101
	v_lshl_add_u32 v98, v99, 3, 0
	s_waitcnt lgkmcnt(0)
	; wave barrier
	s_waitcnt lgkmcnt(0)
	v_add_u32_e32 v1, 0x800, v0
	v_add_u32_e32 v24, 0x1000, v0
	ds_read_b64 v[84:85], v98
	ds_read2_b64 v[20:23], v0 offset1:48
	ds_read2st64_b64 v[28:31], v0 offset0:7 offset1:8
	ds_read2_b64 v[16:19], v0 offset0:96 offset1:144
	ds_read2_b64 v[44:47], v1 offset1:48
	ds_read2_b64 v[36:39], v1 offset0:96 offset1:144
	ds_read2_b64 v[40:43], v24 offset0:48 offset1:96
	;; [unrolled: 1-line block ×3, first 2 shown]
	v_mul_i32_i24_e32 v0, 0xffffff88, v75
	v_cmp_gt_u32_e64 s[0:1], 16, v75
	v_add_u32_e32 v100, v101, v0
                                        ; implicit-def: $vgpr86_vgpr87
                                        ; implicit-def: $vgpr26_vgpr27
	s_and_saveexec_b64 s[14:15], s[0:1]
	s_cbranch_execz .LBB0_15
; %bb.14:
	v_add_u32_e32 v0, 0x180, v100
	ds_read2st64_b64 v[24:27], v0 offset0:3 offset1:7
	ds_read_b64 v[86:87], v100 offset:6016
	s_waitcnt lgkmcnt(1)
	v_mov_b32_e32 v2, v24
	v_mov_b32_e32 v3, v25
.LBB0_15:
	s_or_b64 exec, exec, s[14:15]
	v_add_f64 v[0:1], v[4:5], -v[12:13]
	v_fma_f64 v[8:9], v[8:9], 2.0, -v[52:53]
	v_fma_f64 v[48:49], v[48:49], 2.0, -v[78:79]
	s_waitcnt lgkmcnt(0)
	; wave barrier
	s_waitcnt lgkmcnt(0)
	v_add_f64 v[12:13], v[50:51], v[0:1]
	v_fma_f64 v[4:5], v[4:5], 2.0, -v[0:1]
	v_fma_f64 v[0:1], v[0:1], 2.0, -v[12:13]
	v_add_f64 v[8:9], v[4:5], -v[8:9]
	v_add_f64 v[24:25], v[12:13], v[96:97]
	v_add_f64 v[50:51], v[0:1], -v[94:95]
	v_add_f64 v[52:53], v[56:57], v[8:9]
	v_add_f64 v[24:25], v[92:93], v[24:25]
	v_fma_f64 v[4:5], v[4:5], 2.0, -v[8:9]
	v_fma_f64 v[56:57], v[82:83], 2.0, -v[88:89]
	v_add_u32_e32 v92, 0x800, v100
	v_add_f64 v[78:79], v[90:91], v[50:51]
	v_fma_f64 v[82:83], v[8:9], 2.0, -v[52:53]
	v_fma_f64 v[88:89], v[12:13], 2.0, -v[24:25]
	v_add_f64 v[90:91], v[4:5], -v[48:49]
	v_add_f64 v[8:9], v[80:81], v[52:53]
	v_fma_f64 v[12:13], v[64:65], s[12:13], v[24:25]
	v_add_u32_e32 v80, 0x1000, v100
	v_fma_f64 v[0:1], v[0:1], 2.0, -v[78:79]
	v_add_f64 v[48:49], v[82:83], -v[76:77]
	v_fma_f64 v[50:51], v[66:67], s[10:11], v[88:89]
	v_fma_f64 v[64:65], v[6:7], s[6:7], v[78:79]
	v_fma_f64 v[66:67], v[4:5], 2.0, -v[90:91]
	v_add_f64 v[4:5], v[70:71], v[8:9]
	v_fma_f64 v[6:7], v[60:61], s[6:7], v[12:13]
	v_add_f64 v[8:9], v[54:55], v[90:91]
	v_fma_f64 v[58:59], v[58:59], s[4:5], v[0:1]
	;; [unrolled: 2-line block ×3, first 2 shown]
	v_fma_f64 v[10:11], v[10:11], s[12:13], v[64:65]
	v_add_f64 v[12:13], v[66:67], -v[56:57]
	v_fma_f64 v[52:53], v[52:53], 2.0, -v[4:5]
	v_fma_f64 v[54:55], v[24:25], 2.0, -v[6:7]
	;; [unrolled: 1-line block ×3, first 2 shown]
	v_fma_f64 v[14:15], v[14:15], s[6:7], v[58:59]
	v_fma_f64 v[60:61], v[82:83], 2.0, -v[48:49]
	v_fma_f64 v[62:63], v[88:89], 2.0, -v[50:51]
	;; [unrolled: 1-line block ×4, first 2 shown]
                                        ; implicit-def: $vgpr88_vgpr89
	v_fma_f64 v[66:67], v[0:1], 2.0, -v[14:15]
	ds_write_b128 v101, v[4:7] offset:112
	ds_write_b128 v101, v[52:55] offset:48
	;; [unrolled: 1-line block ×7, first 2 shown]
	ds_write_b128 v101, v[64:67]
	s_waitcnt lgkmcnt(0)
	; wave barrier
	s_waitcnt lgkmcnt(0)
	ds_read2_b64 v[12:15], v100 offset1:48
	ds_read2_b64 v[68:71], v92 offset1:48
	ds_read2st64_b64 v[52:55], v100 offset0:7 offset1:8
	ds_read2_b64 v[64:67], v80 offset0:48 offset1:96
	ds_read2_b64 v[8:11], v100 offset0:96 offset1:144
	;; [unrolled: 1-line block ×4, first 2 shown]
	ds_read_b64 v[0:1], v98
                                        ; implicit-def: $vgpr50_vgpr51
	s_and_saveexec_b64 s[4:5], s[0:1]
	s_cbranch_execz .LBB0_17
; %bb.16:
	v_add_u32_e32 v4, 0x180, v100
	ds_read2st64_b64 v[48:51], v4 offset0:3 offset1:7
	ds_read_b64 v[88:89], v100 offset:6016
	s_waitcnt lgkmcnt(1)
	v_mov_b32_e32 v6, v48
	v_mov_b32_e32 v7, v49
.LBB0_17:
	s_or_b64 exec, exec, s[4:5]
	v_and_b32_e32 v90, 15, v75
	v_lshlrev_b32_e32 v4, 5, v90
	global_load_dwordx4 v[91:94], v4, s[8:9] offset:16
	global_load_dwordx4 v[101:104], v4, s[8:9]
	s_mov_b32 s4, 0xe8584caa
	s_mov_b32 s5, 0x3febb67a
	s_mov_b32 s7, 0xbfebb67a
	s_mov_b32 s6, s4
	v_add_u32_e32 v97, 48, v75
	v_add_u32_e32 v105, 0x60, v75
	;; [unrolled: 1-line block ×3, first 2 shown]
	s_waitcnt vmcnt(0) lgkmcnt(6)
	v_mul_f64 v[24:25], v[70:71], v[103:104]
	v_mul_f64 v[4:5], v[68:69], v[103:104]
	s_waitcnt lgkmcnt(5)
	v_mul_f64 v[48:49], v[52:53], v[103:104]
	v_fma_f64 v[80:81], v[46:47], v[101:102], -v[24:25]
	v_mul_f64 v[24:25], v[46:47], v[103:104]
	v_fma_f64 v[76:77], v[44:45], v[101:102], -v[4:5]
	;; [unrolled: 2-line block ×3, first 2 shown]
	v_mul_f64 v[28:29], v[28:29], v[103:104]
	s_waitcnt lgkmcnt(1)
	v_mul_f64 v[46:47], v[56:57], v[93:94]
	v_fma_f64 v[82:83], v[70:71], v[101:102], v[24:25]
	v_mul_f64 v[24:25], v[64:65], v[93:94]
	v_fma_f64 v[68:69], v[68:69], v[101:102], v[4:5]
	;; [unrolled: 2-line block ×3, first 2 shown]
	v_mul_f64 v[28:29], v[58:59], v[93:94]
	v_fma_f64 v[46:47], v[32:33], v[91:92], -v[46:47]
	v_mul_f64 v[32:33], v[32:33], v[93:94]
	v_fma_f64 v[70:71], v[40:41], v[91:92], -v[24:25]
	;; [unrolled: 2-line block ×3, first 2 shown]
	v_mul_f64 v[4:5], v[30:31], v[93:94]
	v_fma_f64 v[32:33], v[56:57], v[91:92], v[32:33]
	v_fma_f64 v[44:45], v[64:65], v[91:92], v[24:25]
	v_mul_f64 v[24:25], v[60:61], v[103:104]
	v_fma_f64 v[4:5], v[54:55], v[91:92], v[4:5]
	v_fma_f64 v[54:55], v[34:35], v[91:92], -v[28:29]
	v_mul_f64 v[28:29], v[34:35], v[93:94]
	v_lshlrev_b32_e32 v34, 5, v75
	v_and_b32_e32 v34, 0x1e0, v34
	v_fma_f64 v[30:31], v[36:37], v[101:102], -v[24:25]
	v_mul_f64 v[24:25], v[36:37], v[103:104]
	v_fma_f64 v[28:29], v[58:59], v[91:92], v[28:29]
	v_fma_f64 v[36:37], v[60:61], v[101:102], v[24:25]
	v_mul_f64 v[24:25], v[66:67], v[93:94]
	v_fma_f64 v[40:41], v[42:43], v[91:92], -v[24:25]
	v_mul_f64 v[24:25], v[42:43], v[93:94]
	v_mul_f64 v[42:43], v[62:63], v[103:104]
	v_fma_f64 v[24:25], v[66:67], v[91:92], v[24:25]
	v_fma_f64 v[42:43], v[38:39], v[101:102], -v[42:43]
	v_mul_f64 v[38:39], v[38:39], v[103:104]
	v_fma_f64 v[38:39], v[62:63], v[101:102], v[38:39]
	global_load_dwordx4 v[60:63], v34, s[8:9] offset:16
	global_load_dwordx4 v[56:59], v34, s[8:9]
	s_waitcnt lgkmcnt(0)
	; wave barrier
	s_waitcnt vmcnt(0) lgkmcnt(0)
	v_mul_f64 v[34:35], v[50:51], v[58:59]
	v_fma_f64 v[34:35], v[26:27], v[56:57], -v[34:35]
	v_mul_f64 v[26:27], v[26:27], v[58:59]
	v_fma_f64 v[56:57], v[50:51], v[56:57], v[26:27]
	v_mul_f64 v[26:27], v[88:89], v[62:63]
	v_fma_f64 v[58:59], v[86:87], v[60:61], -v[26:27]
	v_mul_f64 v[26:27], v[86:87], v[62:63]
	v_fma_f64 v[50:51], v[88:89], v[60:61], v[26:27]
	v_add_f64 v[60:61], v[76:77], v[78:79]
	v_add_f64 v[26:27], v[20:21], v[76:77]
	v_fma_f64 v[20:21], v[60:61], -0.5, v[20:21]
	v_add_f64 v[60:61], v[68:69], -v[4:5]
	v_add_f64 v[26:27], v[26:27], v[78:79]
	v_fma_f64 v[62:63], v[60:61], s[4:5], v[20:21]
	v_fma_f64 v[20:21], v[60:61], s[6:7], v[20:21]
	v_add_f64 v[60:61], v[22:23], v[80:81]
	v_add_f64 v[64:65], v[60:61], v[70:71]
	v_add_f64 v[60:61], v[80:81], v[70:71]
	v_fma_f64 v[22:23], v[60:61], -0.5, v[22:23]
	v_add_f64 v[60:61], v[82:83], -v[44:45]
	v_fma_f64 v[66:67], v[60:61], s[4:5], v[22:23]
	v_fma_f64 v[22:23], v[60:61], s[6:7], v[22:23]
	v_add_f64 v[60:61], v[16:17], v[30:31]
	v_add_f64 v[86:87], v[60:61], v[40:41]
	v_add_f64 v[60:61], v[30:31], v[40:41]
	v_fma_f64 v[16:17], v[60:61], -0.5, v[16:17]
	v_add_f64 v[60:61], v[36:37], -v[24:25]
	;; [unrolled: 7-line block ×4, first 2 shown]
	v_fma_f64 v[101:102], v[84:85], s[4:5], v[60:61]
	v_fma_f64 v[84:85], v[84:85], s[6:7], v[60:61]
	v_lshrrev_b32_e32 v60, 4, v75
	v_mul_u32_u24_e32 v60, 48, v60
	v_or_b32_e32 v60, v60, v90
	v_lshl_add_u32 v60, v60, 3, 0
	ds_write2_b64 v60, v[26:27], v[62:63] offset1:16
	ds_write_b64 v60, v[20:21] offset:256
	v_lshrrev_b32_e32 v20, 4, v97
	v_mul_u32_u24_e32 v20, 48, v20
	v_or_b32_e32 v20, v20, v90
	v_lshl_add_u32 v61, v20, 3, 0
	v_lshrrev_b32_e32 v20, 4, v105
	v_mul_u32_u24_e32 v20, 48, v20
	v_or_b32_e32 v20, v20, v90
	v_lshl_add_u32 v62, v20, 3, 0
	ds_write2_b64 v61, v[64:65], v[66:67] offset1:16
	ds_write_b64 v61, v[22:23] offset:256
	ds_write2_b64 v62, v[86:87], v[88:89] offset1:16
	ds_write_b64 v62, v[16:17] offset:256
	v_lshrrev_b32_e32 v16, 4, v106
	v_mul_u32_u24_e32 v16, 48, v16
	v_or_b32_e32 v16, v16, v90
	v_lshl_add_u32 v63, v16, 3, 0
	v_lshrrev_b32_e32 v16, 4, v99
	v_mul_lo_u32 v16, v16, 48
	v_lshl_add_u32 v64, v75, 3, 0
	ds_write2_b64 v63, v[91:92], v[93:94] offset1:16
	ds_write_b64 v63, v[18:19] offset:256
	v_or_b32_e32 v16, v16, v90
	v_lshl_add_u32 v65, v16, 3, 0
	ds_write2_b64 v65, v[95:96], v[101:102] offset1:16
	ds_write_b64 v65, v[84:85] offset:256
	s_and_saveexec_b64 s[10:11], s[0:1]
	s_cbranch_execz .LBB0_19
; %bb.18:
	v_add_f64 v[16:17], v[34:35], v[58:59]
	v_add_f64 v[18:19], v[56:57], -v[50:51]
	v_add_f64 v[20:21], v[2:3], v[34:35]
	v_fma_f64 v[2:3], v[16:17], -0.5, v[2:3]
	v_add_f64 v[16:17], v[20:21], v[58:59]
	v_fma_f64 v[20:21], v[18:19], s[4:5], v[2:3]
	v_fma_f64 v[2:3], v[18:19], s[6:7], v[2:3]
	v_add_u32_e32 v18, 0x1000, v64
	ds_write2_b64 v18, v[16:17], v[20:21] offset0:208 offset1:224
	ds_write_b64 v64, v[2:3] offset:6016
.LBB0_19:
	s_or_b64 exec, exec, s[10:11]
	v_add_f64 v[2:3], v[68:69], v[4:5]
	v_add_f64 v[16:17], v[82:83], v[44:45]
	;; [unrolled: 1-line block ×3, first 2 shown]
	v_add_f64 v[20:21], v[76:77], -v[78:79]
	v_add_f64 v[22:23], v[14:15], v[82:83]
	v_add_f64 v[66:67], v[52:53], v[28:29]
	;; [unrolled: 1-line block ×3, first 2 shown]
	s_waitcnt lgkmcnt(0)
	v_fma_f64 v[2:3], v[2:3], -0.5, v[12:13]
	v_add_f64 v[12:13], v[80:81], -v[70:71]
	v_fma_f64 v[14:15], v[16:17], -0.5, v[14:15]
	v_add_f64 v[16:17], v[36:37], v[24:25]
	v_add_f64 v[68:69], v[18:19], v[4:5]
	v_add_f64 v[18:19], v[48:49], -v[54:55]
	; wave barrier
	v_add_f64 v[44:45], v[22:23], v[44:45]
	v_fma_f64 v[70:71], v[20:21], s[6:7], v[2:3]
	v_fma_f64 v[76:77], v[20:21], s[4:5], v[2:3]
	;; [unrolled: 1-line block ×4, first 2 shown]
	v_add_f64 v[2:3], v[8:9], v[36:37]
	v_fma_f64 v[4:5], v[16:17], -0.5, v[8:9]
	v_add_f64 v[8:9], v[30:31], -v[40:41]
	v_add_f64 v[12:13], v[10:11], v[38:39]
	v_add_f64 v[16:17], v[0:1], v[52:53]
	v_fma_f64 v[0:1], v[66:67], -0.5, v[0:1]
	v_fma_f64 v[10:11], v[26:27], -0.5, v[10:11]
	v_add_f64 v[14:15], v[42:43], -v[46:47]
	v_add_f64 v[36:37], v[2:3], v[24:25]
	v_fma_f64 v[38:39], v[8:9], s[6:7], v[4:5]
	v_fma_f64 v[40:41], v[8:9], s[4:5], v[4:5]
	v_add_f64 v[42:43], v[12:13], v[32:33]
	v_add_f64 v[52:53], v[16:17], v[28:29]
	v_fma_f64 v[54:55], v[18:19], s[6:7], v[0:1]
	v_fma_f64 v[66:67], v[18:19], s[4:5], v[0:1]
	ds_read2_b64 v[0:3], v100 offset1:48
	ds_read2_b64 v[28:31], v100 offset0:96 offset1:144
	ds_read_b64 v[32:33], v98
	ds_read_b64 v[4:5], v64 offset:1920
	v_add_u32_e32 v8, 0x800, v100
	v_add_u32_e32 v12, 0xc00, v100
	v_add_u32_e32 v16, 0x1000, v100
	v_fma_f64 v[46:47], v[14:15], s[6:7], v[10:11]
	v_fma_f64 v[48:49], v[14:15], s[4:5], v[10:11]
	ds_read2_b64 v[20:23], v8 offset0:32 offset1:80
	ds_read2_b64 v[8:11], v8 offset0:128 offset1:176
	ds_read2_b64 v[24:27], v12 offset0:96 offset1:144
	ds_read2_b64 v[12:15], v16 offset0:64 offset1:112
	ds_read2_b64 v[16:19], v16 offset0:160 offset1:208
	s_waitcnt lgkmcnt(0)
	; wave barrier
	s_waitcnt lgkmcnt(0)
	ds_write2_b64 v60, v[68:69], v[70:71] offset1:16
	ds_write_b64 v60, v[76:77] offset:256
	ds_write2_b64 v61, v[44:45], v[78:79] offset1:16
	ds_write_b64 v61, v[80:81] offset:256
	;; [unrolled: 2-line block ×5, first 2 shown]
	s_and_saveexec_b64 s[4:5], s[0:1]
	s_cbranch_execz .LBB0_21
; %bb.20:
	v_add_f64 v[36:37], v[56:57], v[50:51]
	v_add_f64 v[38:39], v[6:7], v[56:57]
	v_add_f64 v[34:35], v[34:35], -v[58:59]
	s_mov_b32 s1, 0xbfebb67a
	s_mov_b32 s0, 0xe8584caa
	v_fma_f64 v[6:7], v[36:37], -0.5, v[6:7]
	v_add_f64 v[36:37], v[38:39], v[50:51]
	v_fma_f64 v[38:39], v[34:35], s[0:1], v[6:7]
	s_mov_b32 s1, 0x3febb67a
	v_fma_f64 v[6:7], v[34:35], s[0:1], v[6:7]
	v_add_u32_e32 v34, 0x1000, v64
	ds_write2_b64 v34, v[36:37], v[38:39] offset0:208 offset1:224
	ds_write_b64 v64, v[6:7] offset:6016
.LBB0_21:
	s_or_b64 exec, exec, s[4:5]
	s_waitcnt lgkmcnt(0)
	; wave barrier
	s_waitcnt lgkmcnt(0)
	s_and_saveexec_b64 s[0:1], vcc
	s_cbranch_execz .LBB0_23
; %bb.22:
	v_mul_u32_u24_e32 v6, 15, v75
	v_lshlrev_b32_e32 v6, 4, v6
	global_load_dwordx4 v[34:37], v6, s[8:9] offset:528
	global_load_dwordx4 v[38:41], v6, s[8:9] offset:544
	;; [unrolled: 1-line block ×15, first 2 shown]
	ds_read2_b64 v[109:112], v100 offset0:96 offset1:144
	v_add_u32_e32 v62, 0xc00, v100
	ds_read2_b64 v[117:120], v62 offset0:96 offset1:144
	v_add_u32_e32 v71, 0x800, v100
	v_add_u32_e32 v121, 0x1000, v100
	ds_read2_b64 v[113:116], v100 offset1:48
	ds_read_b64 v[69:70], v98
	ds_read_b64 v[95:96], v64 offset:1920
	s_mov_b32 s0, 0x667f3bcd
	s_mov_b32 s1, 0x3fe6a09e
	s_mov_b32 s5, 0xbfe6a09e
	s_mov_b32 s4, s0
	s_mov_b32 s6, 0xcf328d46
	s_mov_b32 s7, 0x3fed906b
	s_mov_b32 s8, 0xa6aea964
	s_mov_b32 s9, 0x3fd87de2
	s_mov_b32 s11, 0xbfd87de2
	s_mov_b32 s10, s8
	s_mov_b32 s15, 0xbfed906b
	s_mov_b32 s14, s6
	s_movk_i32 s12, 0x1000
	s_waitcnt vmcnt(14) lgkmcnt(4)
	v_mul_f64 v[6:7], v[109:110], v[36:37]
	v_mul_f64 v[36:37], v[28:29], v[36:37]
	s_waitcnt vmcnt(13)
	v_mul_f64 v[62:63], v[111:112], v[40:41]
	v_mul_f64 v[40:41], v[30:31], v[40:41]
	s_waitcnt vmcnt(12) lgkmcnt(3)
	v_mul_f64 v[97:98], v[117:118], v[44:45]
	v_mul_f64 v[44:45], v[24:25], v[44:45]
	v_fma_f64 v[6:7], v[28:29], v[34:35], -v[6:7]
	v_fma_f64 v[99:100], v[34:35], v[109:110], v[36:37]
	s_waitcnt vmcnt(11)
	v_mul_f64 v[109:110], v[119:120], v[48:49]
	v_mul_f64 v[48:49], v[26:27], v[48:49]
	v_fma_f64 v[62:63], v[30:31], v[38:39], -v[62:63]
	ds_read2_b64 v[28:31], v71 offset0:32 offset1:80
	ds_read2_b64 v[34:37], v121 offset0:160 offset1:208
	v_fma_f64 v[97:98], v[24:25], v[42:43], -v[97:98]
	v_fma_f64 v[42:43], v[42:43], v[117:118], v[44:45]
	s_waitcnt vmcnt(10)
	v_mul_f64 v[44:45], v[20:21], v[52:53]
	v_fma_f64 v[109:110], v[26:27], v[46:47], -v[109:110]
	v_fma_f64 v[46:47], v[46:47], v[119:120], v[48:49]
	s_waitcnt vmcnt(9)
	v_mul_f64 v[48:49], v[22:23], v[56:57]
	s_waitcnt lgkmcnt(1)
	v_mul_f64 v[56:57], v[30:31], v[56:57]
	v_mul_f64 v[52:53], v[28:29], v[52:53]
	s_waitcnt vmcnt(8)
	v_mul_f64 v[117:118], v[16:17], v[60:61]
	v_fma_f64 v[111:112], v[38:39], v[111:112], v[40:41]
	ds_read2_b64 v[38:41], v71 offset0:128 offset1:176
	ds_read2_b64 v[24:27], v121 offset0:64 offset1:112
	s_waitcnt vmcnt(7)
	v_mul_f64 v[119:120], v[8:9], v[67:68]
	v_fma_f64 v[30:31], v[30:31], v[54:55], v[48:49]
	s_waitcnt lgkmcnt(2)
	v_mul_f64 v[48:49], v[34:35], v[60:61]
	v_fma_f64 v[22:23], v[22:23], v[54:55], -v[56:57]
	s_waitcnt vmcnt(3)
	v_mul_f64 v[54:55], v[18:19], v[89:90]
	v_mul_f64 v[89:90], v[36:37], v[89:90]
	v_fma_f64 v[28:29], v[28:29], v[50:51], v[44:45]
	v_fma_f64 v[20:21], v[20:21], v[50:51], -v[52:53]
	v_mul_f64 v[44:45], v[69:70], v[77:78]
	s_waitcnt lgkmcnt(0)
	v_mul_f64 v[50:51], v[24:25], v[81:82]
	v_mul_f64 v[52:53], v[115:116], v[85:86]
	s_waitcnt vmcnt(2)
	v_mul_f64 v[56:57], v[40:41], v[93:94]
	s_waitcnt vmcnt(1)
	v_mul_f64 v[60:61], v[4:5], v[103:104]
	v_fma_f64 v[34:35], v[34:35], v[58:59], v[117:118]
	v_fma_f64 v[16:17], v[16:17], v[58:59], -v[48:49]
	s_waitcnt vmcnt(0)
	v_mul_f64 v[48:49], v[14:15], v[107:108]
	v_mul_f64 v[58:59], v[2:3], v[85:86]
	v_fma_f64 v[36:37], v[36:37], v[87:88], v[54:55]
	v_mul_f64 v[54:55], v[10:11], v[93:94]
	v_mul_f64 v[85:86], v[95:96], v[103:104]
	v_fma_f64 v[18:19], v[18:19], v[87:88], -v[89:90]
	v_mul_f64 v[87:88], v[26:27], v[107:108]
	v_mul_f64 v[67:68], v[38:39], v[67:68]
	;; [unrolled: 1-line block ×4, first 2 shown]
	v_fma_f64 v[38:39], v[38:39], v[65:66], v[119:120]
	v_fma_f64 v[32:33], v[32:33], v[75:76], -v[44:45]
	v_fma_f64 v[12:13], v[12:13], v[79:80], -v[50:51]
	;; [unrolled: 1-line block ×4, first 2 shown]
	v_fma_f64 v[44:45], v[95:96], v[101:102], v[60:61]
	v_fma_f64 v[26:27], v[26:27], v[105:106], v[48:49]
	;; [unrolled: 1-line block ×4, first 2 shown]
	v_fma_f64 v[4:5], v[4:5], v[101:102], -v[85:86]
	v_fma_f64 v[14:15], v[14:15], v[105:106], -v[87:88]
	;; [unrolled: 1-line block ×3, first 2 shown]
	v_fma_f64 v[50:51], v[75:76], v[69:70], v[77:78]
	v_fma_f64 v[24:25], v[79:80], v[24:25], v[81:82]
	v_add_f64 v[52:53], v[6:7], -v[97:98]
	v_add_f64 v[34:35], v[28:29], -v[34:35]
	;; [unrolled: 1-line block ×16, first 2 shown]
	v_add_f64 v[56:57], v[38:39], v[12:13]
	v_add_f64 v[58:59], v[42:43], v[16:17]
	;; [unrolled: 1-line block ×4, first 2 shown]
	v_add_f64 v[66:67], v[52:53], -v[34:35]
	v_add_f64 v[68:69], v[10:11], -v[26:27]
	;; [unrolled: 1-line block ×4, first 2 shown]
	v_fma_f64 v[85:86], v[113:114], 2.0, -v[38:39]
	v_fma_f64 v[24:25], v[50:51], 2.0, -v[24:25]
	;; [unrolled: 1-line block ×16, first 2 shown]
	v_fma_f64 v[77:78], v[58:59], s[0:1], v[56:57]
	v_fma_f64 v[79:80], v[60:61], s[0:1], v[64:65]
	;; [unrolled: 1-line block ×4, first 2 shown]
	v_add_f64 v[32:33], v[85:86], -v[24:25]
	v_add_f64 v[24:25], v[87:88], -v[6:7]
	;; [unrolled: 1-line block ×8, first 2 shown]
	v_fma_f64 v[0:1], v[52:53], 2.0, -v[66:67]
	v_fma_f64 v[28:29], v[38:39], 2.0, -v[56:57]
	;; [unrolled: 1-line block ×8, first 2 shown]
	v_fma_f64 v[77:78], v[66:67], s[0:1], v[77:78]
	v_fma_f64 v[79:80], v[70:71], s[0:1], v[79:80]
	;; [unrolled: 1-line block ×4, first 2 shown]
	v_add_f64 v[46:47], v[24:25], v[32:33]
	v_add_f64 v[54:55], v[44:45], v[18:19]
	v_fma_f64 v[8:9], v[2:3], s[4:5], v[28:29]
	v_fma_f64 v[10:11], v[4:5], s[4:5], v[38:39]
	;; [unrolled: 1-line block ×4, first 2 shown]
	v_add_f64 v[52:53], v[34:35], -v[36:37]
	v_add_f64 v[58:59], v[48:49], -v[26:27]
	v_fma_f64 v[83:84], v[79:80], s[6:7], v[77:78]
	v_fma_f64 v[66:67], v[50:51], s[6:7], v[81:82]
	;; [unrolled: 1-line block ×11, first 2 shown]
	v_fma_f64 v[70:71], v[85:86], 2.0, -v[32:33]
	v_fma_f64 v[12:13], v[12:13], 2.0, -v[26:27]
	v_fma_f64 v[8:9], v[60:61], s[8:9], v[91:92]
	v_fma_f64 v[66:67], v[93:94], s[8:9], v[62:63]
	v_fma_f64 v[83:84], v[16:17], 2.0, -v[34:35]
	v_fma_f64 v[16:17], v[30:31], 2.0, -v[18:19]
	;; [unrolled: 1-line block ×6, first 2 shown]
	v_fma_f64 v[4:5], v[54:55], s[4:5], v[89:90]
	v_fma_f64 v[10:11], v[93:94], s[6:7], v[8:9]
	;; [unrolled: 1-line block ×3, first 2 shown]
	v_add_f64 v[36:37], v[70:71], -v[12:13]
	v_add_f64 v[66:67], v[83:84], -v[16:17]
	;; [unrolled: 1-line block ×3, first 2 shown]
	v_fma_f64 v[18:19], v[46:47], 2.0, -v[6:7]
	v_add_f64 v[95:96], v[87:88], -v[14:15]
	v_fma_f64 v[56:57], v[56:57], 2.0, -v[77:78]
	v_fma_f64 v[50:51], v[68:69], 2.0, -v[50:51]
	;; [unrolled: 1-line block ×15, first 2 shown]
	v_add_f64 v[26:27], v[36:37], v[66:67]
	v_fma_f64 v[32:33], v[64:65], s[10:11], v[56:57]
	v_fma_f64 v[38:39], v[50:51], s[10:11], v[68:69]
	;; [unrolled: 1-line block ×5, first 2 shown]
	v_fma_f64 v[70:71], v[70:71], 2.0, -v[36:37]
	v_fma_f64 v[79:80], v[87:88], 2.0, -v[95:96]
	;; [unrolled: 1-line block ×5, first 2 shown]
	v_fma_f64 v[62:63], v[40:41], s[14:15], v[58:59]
	v_fma_f64 v[30:31], v[36:37], 2.0, -v[26:27]
	v_fma_f64 v[34:35], v[50:51], s[6:7], v[32:33]
	v_fma_f64 v[32:33], v[64:65], s[14:15], v[38:39]
	;; [unrolled: 1-line block ×5, first 2 shown]
	v_add_f64 v[46:47], v[70:71], -v[79:80]
	v_add_f64 v[44:45], v[81:82], -v[66:67]
	v_fma_f64 v[42:43], v[48:49], s[8:9], v[62:63]
	v_add_f64 v[24:25], v[89:90], -v[95:96]
	v_fma_f64 v[50:51], v[56:57], 2.0, -v[34:35]
	v_fma_f64 v[54:55], v[75:76], 2.0, -v[38:39]
	;; [unrolled: 1-line block ×8, first 2 shown]
	v_mov_b32_e32 v75, 0
	v_mov_b32_e32 v64, s3
	v_add_co_u32_e32 v66, vcc, s2, v72
	v_fma_f64 v[28:29], v[89:90], 2.0, -v[24:25]
	v_addc_co_u32_e32 v67, vcc, v64, v73, vcc
	v_lshlrev_b64 v[64:65], 4, v[74:75]
	v_fma_f64 v[22:23], v[91:92], 2.0, -v[10:11]
	v_add_co_u32_e32 v64, vcc, v66, v64
	v_addc_co_u32_e32 v65, vcc, v67, v65, vcc
	global_store_dwordx4 v[64:65], v[60:63], off
	global_store_dwordx4 v[64:65], v[56:59], off offset:768
	global_store_dwordx4 v[64:65], v[52:55], off offset:1536
	;; [unrolled: 1-line block ×5, first 2 shown]
	s_movk_i32 s0, 0x2000
	v_add_co_u32_e32 v20, vcc, s12, v64
	v_addc_co_u32_e32 v21, vcc, 0, v65, vcc
	global_store_dwordx4 v[20:21], v[16:19], off offset:512
	global_store_dwordx4 v[20:21], v[12:15], off offset:1280
	s_nop 0
	v_or_b32_e32 v12, 0x180, v74
	v_mov_b32_e32 v13, v75
	v_lshlrev_b64 v[12:13], 4, v[12:13]
	v_or_b32_e32 v74, 0x240, v74
	v_add_co_u32_e32 v12, vcc, v66, v12
	v_addc_co_u32_e32 v13, vcc, v67, v13, vcc
	global_store_dwordx4 v[12:13], v[44:47], off
	global_store_dwordx4 v[20:21], v[40:43], off offset:2816
	global_store_dwordx4 v[20:21], v[36:39], off offset:3584
	v_add_co_u32_e32 v12, vcc, s0, v64
	v_lshlrev_b64 v[14:15], 4, v[74:75]
	v_addc_co_u32_e32 v13, vcc, 0, v65, vcc
	v_add_co_u32_e32 v14, vcc, v66, v14
	v_addc_co_u32_e32 v15, vcc, v67, v15, vcc
	global_store_dwordx4 v[12:13], v[32:35], off offset:256
	global_store_dwordx4 v[14:15], v[24:27], off
	global_store_dwordx4 v[12:13], v[8:11], off offset:1792
	global_store_dwordx4 v[12:13], v[4:7], off offset:2560
	;; [unrolled: 1-line block ×3, first 2 shown]
.LBB0_23:
	s_endpgm
	.section	.rodata,"a",@progbits
	.p2align	6, 0x0
	.amdhsa_kernel fft_rtc_fwd_len768_factors_16_3_16_wgs_48_tpt_48_halfLds_dp_ip_CI_unitstride_sbrr_dirReg
		.amdhsa_group_segment_fixed_size 0
		.amdhsa_private_segment_fixed_size 0
		.amdhsa_kernarg_size 88
		.amdhsa_user_sgpr_count 6
		.amdhsa_user_sgpr_private_segment_buffer 1
		.amdhsa_user_sgpr_dispatch_ptr 0
		.amdhsa_user_sgpr_queue_ptr 0
		.amdhsa_user_sgpr_kernarg_segment_ptr 1
		.amdhsa_user_sgpr_dispatch_id 0
		.amdhsa_user_sgpr_flat_scratch_init 0
		.amdhsa_user_sgpr_private_segment_size 0
		.amdhsa_uses_dynamic_stack 0
		.amdhsa_system_sgpr_private_segment_wavefront_offset 0
		.amdhsa_system_sgpr_workgroup_id_x 1
		.amdhsa_system_sgpr_workgroup_id_y 0
		.amdhsa_system_sgpr_workgroup_id_z 0
		.amdhsa_system_sgpr_workgroup_info 0
		.amdhsa_system_vgpr_workitem_id 0
		.amdhsa_next_free_vgpr 122
		.amdhsa_next_free_sgpr 22
		.amdhsa_reserve_vcc 1
		.amdhsa_reserve_flat_scratch 0
		.amdhsa_float_round_mode_32 0
		.amdhsa_float_round_mode_16_64 0
		.amdhsa_float_denorm_mode_32 3
		.amdhsa_float_denorm_mode_16_64 3
		.amdhsa_dx10_clamp 1
		.amdhsa_ieee_mode 1
		.amdhsa_fp16_overflow 0
		.amdhsa_exception_fp_ieee_invalid_op 0
		.amdhsa_exception_fp_denorm_src 0
		.amdhsa_exception_fp_ieee_div_zero 0
		.amdhsa_exception_fp_ieee_overflow 0
		.amdhsa_exception_fp_ieee_underflow 0
		.amdhsa_exception_fp_ieee_inexact 0
		.amdhsa_exception_int_div_zero 0
	.end_amdhsa_kernel
	.text
.Lfunc_end0:
	.size	fft_rtc_fwd_len768_factors_16_3_16_wgs_48_tpt_48_halfLds_dp_ip_CI_unitstride_sbrr_dirReg, .Lfunc_end0-fft_rtc_fwd_len768_factors_16_3_16_wgs_48_tpt_48_halfLds_dp_ip_CI_unitstride_sbrr_dirReg
                                        ; -- End function
	.section	.AMDGPU.csdata,"",@progbits
; Kernel info:
; codeLenInByte = 7204
; NumSgprs: 26
; NumVgprs: 122
; ScratchSize: 0
; MemoryBound: 1
; FloatMode: 240
; IeeeMode: 1
; LDSByteSize: 0 bytes/workgroup (compile time only)
; SGPRBlocks: 3
; VGPRBlocks: 30
; NumSGPRsForWavesPerEU: 26
; NumVGPRsForWavesPerEU: 122
; Occupancy: 2
; WaveLimiterHint : 1
; COMPUTE_PGM_RSRC2:SCRATCH_EN: 0
; COMPUTE_PGM_RSRC2:USER_SGPR: 6
; COMPUTE_PGM_RSRC2:TRAP_HANDLER: 0
; COMPUTE_PGM_RSRC2:TGID_X_EN: 1
; COMPUTE_PGM_RSRC2:TGID_Y_EN: 0
; COMPUTE_PGM_RSRC2:TGID_Z_EN: 0
; COMPUTE_PGM_RSRC2:TIDIG_COMP_CNT: 0
	.type	__hip_cuid_d72b8155909f6c18,@object ; @__hip_cuid_d72b8155909f6c18
	.section	.bss,"aw",@nobits
	.globl	__hip_cuid_d72b8155909f6c18
__hip_cuid_d72b8155909f6c18:
	.byte	0                               ; 0x0
	.size	__hip_cuid_d72b8155909f6c18, 1

	.ident	"AMD clang version 19.0.0git (https://github.com/RadeonOpenCompute/llvm-project roc-6.4.0 25133 c7fe45cf4b819c5991fe208aaa96edf142730f1d)"
	.section	".note.GNU-stack","",@progbits
	.addrsig
	.addrsig_sym __hip_cuid_d72b8155909f6c18
	.amdgpu_metadata
---
amdhsa.kernels:
  - .args:
      - .actual_access:  read_only
        .address_space:  global
        .offset:         0
        .size:           8
        .value_kind:     global_buffer
      - .offset:         8
        .size:           8
        .value_kind:     by_value
      - .actual_access:  read_only
        .address_space:  global
        .offset:         16
        .size:           8
        .value_kind:     global_buffer
      - .actual_access:  read_only
        .address_space:  global
        .offset:         24
        .size:           8
        .value_kind:     global_buffer
      - .offset:         32
        .size:           8
        .value_kind:     by_value
      - .actual_access:  read_only
        .address_space:  global
        .offset:         40
        .size:           8
        .value_kind:     global_buffer
      - .actual_access:  read_only
        .address_space:  global
        .offset:         48
        .size:           8
        .value_kind:     global_buffer
      - .offset:         56
        .size:           4
        .value_kind:     by_value
      - .actual_access:  read_only
        .address_space:  global
        .offset:         64
        .size:           8
        .value_kind:     global_buffer
      - .actual_access:  read_only
        .address_space:  global
        .offset:         72
        .size:           8
        .value_kind:     global_buffer
      - .address_space:  global
        .offset:         80
        .size:           8
        .value_kind:     global_buffer
    .group_segment_fixed_size: 0
    .kernarg_segment_align: 8
    .kernarg_segment_size: 88
    .language:       OpenCL C
    .language_version:
      - 2
      - 0
    .max_flat_workgroup_size: 48
    .name:           fft_rtc_fwd_len768_factors_16_3_16_wgs_48_tpt_48_halfLds_dp_ip_CI_unitstride_sbrr_dirReg
    .private_segment_fixed_size: 0
    .sgpr_count:     26
    .sgpr_spill_count: 0
    .symbol:         fft_rtc_fwd_len768_factors_16_3_16_wgs_48_tpt_48_halfLds_dp_ip_CI_unitstride_sbrr_dirReg.kd
    .uniform_work_group_size: 1
    .uses_dynamic_stack: false
    .vgpr_count:     122
    .vgpr_spill_count: 0
    .wavefront_size: 64
amdhsa.target:   amdgcn-amd-amdhsa--gfx906
amdhsa.version:
  - 1
  - 2
...

	.end_amdgpu_metadata
